;; amdgpu-corpus repo=ROCm/rocFFT kind=compiled arch=gfx1030 opt=O3
	.text
	.amdgcn_target "amdgcn-amd-amdhsa--gfx1030"
	.amdhsa_code_object_version 6
	.protected	fft_rtc_fwd_len960_factors_16_10_6_wgs_160_tpt_160_dp_ip_CI_unitstride_sbrr_R2C_dirReg ; -- Begin function fft_rtc_fwd_len960_factors_16_10_6_wgs_160_tpt_160_dp_ip_CI_unitstride_sbrr_R2C_dirReg
	.globl	fft_rtc_fwd_len960_factors_16_10_6_wgs_160_tpt_160_dp_ip_CI_unitstride_sbrr_R2C_dirReg
	.p2align	8
	.type	fft_rtc_fwd_len960_factors_16_10_6_wgs_160_tpt_160_dp_ip_CI_unitstride_sbrr_R2C_dirReg,@function
fft_rtc_fwd_len960_factors_16_10_6_wgs_160_tpt_160_dp_ip_CI_unitstride_sbrr_R2C_dirReg: ; @fft_rtc_fwd_len960_factors_16_10_6_wgs_160_tpt_160_dp_ip_CI_unitstride_sbrr_R2C_dirReg
; %bb.0:
	s_clause 0x2
	s_load_dwordx4 s[8:11], s[4:5], 0x0
	s_load_dwordx2 s[2:3], s[4:5], 0x50
	s_load_dwordx2 s[12:13], s[4:5], 0x18
	v_mul_u32_u24_e32 v1, 0x19a, v0
	v_mov_b32_e32 v3, 0
	v_add_nc_u32_sdwa v5, s6, v1 dst_sel:DWORD dst_unused:UNUSED_PAD src0_sel:DWORD src1_sel:WORD_1
	v_mov_b32_e32 v1, 0
	v_mov_b32_e32 v6, v3
	v_mov_b32_e32 v2, 0
	s_waitcnt lgkmcnt(0)
	v_cmp_lt_u64_e64 s0, s[10:11], 2
	s_and_b32 vcc_lo, exec_lo, s0
	s_cbranch_vccnz .LBB0_8
; %bb.1:
	s_load_dwordx2 s[0:1], s[4:5], 0x10
	v_mov_b32_e32 v1, 0
	s_add_u32 s6, s12, 8
	v_mov_b32_e32 v2, 0
	s_addc_u32 s7, s13, 0
	s_mov_b64 s[16:17], 1
	s_waitcnt lgkmcnt(0)
	s_add_u32 s14, s0, 8
	s_addc_u32 s15, s1, 0
.LBB0_2:                                ; =>This Inner Loop Header: Depth=1
	s_load_dwordx2 s[18:19], s[14:15], 0x0
                                        ; implicit-def: $vgpr7_vgpr8
	s_mov_b32 s0, exec_lo
	s_waitcnt lgkmcnt(0)
	v_or_b32_e32 v4, s19, v6
	v_cmpx_ne_u64_e32 0, v[3:4]
	s_xor_b32 s1, exec_lo, s0
	s_cbranch_execz .LBB0_4
; %bb.3:                                ;   in Loop: Header=BB0_2 Depth=1
	v_cvt_f32_u32_e32 v4, s18
	v_cvt_f32_u32_e32 v7, s19
	s_sub_u32 s0, 0, s18
	s_subb_u32 s20, 0, s19
	v_fmac_f32_e32 v4, 0x4f800000, v7
	v_rcp_f32_e32 v4, v4
	v_mul_f32_e32 v4, 0x5f7ffffc, v4
	v_mul_f32_e32 v7, 0x2f800000, v4
	v_trunc_f32_e32 v7, v7
	v_fmac_f32_e32 v4, 0xcf800000, v7
	v_cvt_u32_f32_e32 v7, v7
	v_cvt_u32_f32_e32 v4, v4
	v_mul_lo_u32 v8, s0, v7
	v_mul_hi_u32 v9, s0, v4
	v_mul_lo_u32 v10, s20, v4
	v_add_nc_u32_e32 v8, v9, v8
	v_mul_lo_u32 v9, s0, v4
	v_add_nc_u32_e32 v8, v8, v10
	v_mul_hi_u32 v10, v4, v9
	v_mul_lo_u32 v11, v4, v8
	v_mul_hi_u32 v12, v4, v8
	v_mul_hi_u32 v13, v7, v9
	v_mul_lo_u32 v9, v7, v9
	v_mul_hi_u32 v14, v7, v8
	v_mul_lo_u32 v8, v7, v8
	v_add_co_u32 v10, vcc_lo, v10, v11
	v_add_co_ci_u32_e32 v11, vcc_lo, 0, v12, vcc_lo
	v_add_co_u32 v9, vcc_lo, v10, v9
	v_add_co_ci_u32_e32 v9, vcc_lo, v11, v13, vcc_lo
	v_add_co_ci_u32_e32 v10, vcc_lo, 0, v14, vcc_lo
	v_add_co_u32 v8, vcc_lo, v9, v8
	v_add_co_ci_u32_e32 v9, vcc_lo, 0, v10, vcc_lo
	v_add_co_u32 v4, vcc_lo, v4, v8
	v_add_co_ci_u32_e32 v7, vcc_lo, v7, v9, vcc_lo
	v_mul_hi_u32 v8, s0, v4
	v_mul_lo_u32 v10, s20, v4
	v_mul_lo_u32 v9, s0, v7
	v_add_nc_u32_e32 v8, v8, v9
	v_mul_lo_u32 v9, s0, v4
	v_add_nc_u32_e32 v8, v8, v10
	v_mul_hi_u32 v10, v4, v9
	v_mul_lo_u32 v11, v4, v8
	v_mul_hi_u32 v12, v4, v8
	v_mul_hi_u32 v13, v7, v9
	v_mul_lo_u32 v9, v7, v9
	v_mul_hi_u32 v14, v7, v8
	v_mul_lo_u32 v8, v7, v8
	v_add_co_u32 v10, vcc_lo, v10, v11
	v_add_co_ci_u32_e32 v11, vcc_lo, 0, v12, vcc_lo
	v_add_co_u32 v9, vcc_lo, v10, v9
	v_add_co_ci_u32_e32 v9, vcc_lo, v11, v13, vcc_lo
	v_add_co_ci_u32_e32 v10, vcc_lo, 0, v14, vcc_lo
	v_add_co_u32 v8, vcc_lo, v9, v8
	v_add_co_ci_u32_e32 v9, vcc_lo, 0, v10, vcc_lo
	v_add_co_u32 v4, vcc_lo, v4, v8
	v_add_co_ci_u32_e32 v11, vcc_lo, v7, v9, vcc_lo
	v_mul_hi_u32 v13, v5, v4
	v_mad_u64_u32 v[9:10], null, v6, v4, 0
	v_mad_u64_u32 v[7:8], null, v5, v11, 0
	;; [unrolled: 1-line block ×3, first 2 shown]
	v_add_co_u32 v4, vcc_lo, v13, v7
	v_add_co_ci_u32_e32 v7, vcc_lo, 0, v8, vcc_lo
	v_add_co_u32 v4, vcc_lo, v4, v9
	v_add_co_ci_u32_e32 v4, vcc_lo, v7, v10, vcc_lo
	v_add_co_ci_u32_e32 v7, vcc_lo, 0, v12, vcc_lo
	v_add_co_u32 v4, vcc_lo, v4, v11
	v_add_co_ci_u32_e32 v9, vcc_lo, 0, v7, vcc_lo
	v_mul_lo_u32 v10, s19, v4
	v_mad_u64_u32 v[7:8], null, s18, v4, 0
	v_mul_lo_u32 v11, s18, v9
	v_sub_co_u32 v7, vcc_lo, v5, v7
	v_add3_u32 v8, v8, v11, v10
	v_sub_nc_u32_e32 v10, v6, v8
	v_subrev_co_ci_u32_e64 v10, s0, s19, v10, vcc_lo
	v_add_co_u32 v11, s0, v4, 2
	v_add_co_ci_u32_e64 v12, s0, 0, v9, s0
	v_sub_co_u32 v13, s0, v7, s18
	v_sub_co_ci_u32_e32 v8, vcc_lo, v6, v8, vcc_lo
	v_subrev_co_ci_u32_e64 v10, s0, 0, v10, s0
	v_cmp_le_u32_e32 vcc_lo, s18, v13
	v_cmp_eq_u32_e64 s0, s19, v8
	v_cndmask_b32_e64 v13, 0, -1, vcc_lo
	v_cmp_le_u32_e32 vcc_lo, s19, v10
	v_cndmask_b32_e64 v14, 0, -1, vcc_lo
	v_cmp_le_u32_e32 vcc_lo, s18, v7
	;; [unrolled: 2-line block ×3, first 2 shown]
	v_cndmask_b32_e64 v15, 0, -1, vcc_lo
	v_cmp_eq_u32_e32 vcc_lo, s19, v10
	v_cndmask_b32_e64 v7, v15, v7, s0
	v_cndmask_b32_e32 v10, v14, v13, vcc_lo
	v_add_co_u32 v13, vcc_lo, v4, 1
	v_add_co_ci_u32_e32 v14, vcc_lo, 0, v9, vcc_lo
	v_cmp_ne_u32_e32 vcc_lo, 0, v10
	v_cndmask_b32_e32 v8, v14, v12, vcc_lo
	v_cndmask_b32_e32 v10, v13, v11, vcc_lo
	v_cmp_ne_u32_e32 vcc_lo, 0, v7
	v_cndmask_b32_e32 v8, v9, v8, vcc_lo
	v_cndmask_b32_e32 v7, v4, v10, vcc_lo
.LBB0_4:                                ;   in Loop: Header=BB0_2 Depth=1
	s_andn2_saveexec_b32 s0, s1
	s_cbranch_execz .LBB0_6
; %bb.5:                                ;   in Loop: Header=BB0_2 Depth=1
	v_cvt_f32_u32_e32 v4, s18
	s_sub_i32 s1, 0, s18
	v_rcp_iflag_f32_e32 v4, v4
	v_mul_f32_e32 v4, 0x4f7ffffe, v4
	v_cvt_u32_f32_e32 v4, v4
	v_mul_lo_u32 v7, s1, v4
	v_mul_hi_u32 v7, v4, v7
	v_add_nc_u32_e32 v4, v4, v7
	v_mul_hi_u32 v4, v5, v4
	v_mul_lo_u32 v7, v4, s18
	v_add_nc_u32_e32 v8, 1, v4
	v_sub_nc_u32_e32 v7, v5, v7
	v_subrev_nc_u32_e32 v9, s18, v7
	v_cmp_le_u32_e32 vcc_lo, s18, v7
	v_cndmask_b32_e32 v7, v7, v9, vcc_lo
	v_cndmask_b32_e32 v4, v4, v8, vcc_lo
	v_cmp_le_u32_e32 vcc_lo, s18, v7
	v_add_nc_u32_e32 v8, 1, v4
	v_cndmask_b32_e32 v7, v4, v8, vcc_lo
	v_mov_b32_e32 v8, v3
.LBB0_6:                                ;   in Loop: Header=BB0_2 Depth=1
	s_or_b32 exec_lo, exec_lo, s0
	s_load_dwordx2 s[0:1], s[6:7], 0x0
	v_mul_lo_u32 v4, v8, s18
	v_mul_lo_u32 v11, v7, s19
	v_mad_u64_u32 v[9:10], null, v7, s18, 0
	s_add_u32 s16, s16, 1
	s_addc_u32 s17, s17, 0
	s_add_u32 s6, s6, 8
	s_addc_u32 s7, s7, 0
	;; [unrolled: 2-line block ×3, first 2 shown]
	v_add3_u32 v4, v10, v11, v4
	v_sub_co_u32 v5, vcc_lo, v5, v9
	v_sub_co_ci_u32_e32 v4, vcc_lo, v6, v4, vcc_lo
	s_waitcnt lgkmcnt(0)
	v_mul_lo_u32 v6, s1, v5
	v_mul_lo_u32 v4, s0, v4
	v_mad_u64_u32 v[1:2], null, s0, v5, v[1:2]
	v_cmp_ge_u64_e64 s0, s[16:17], s[10:11]
	s_and_b32 vcc_lo, exec_lo, s0
	v_add3_u32 v2, v6, v2, v4
	s_cbranch_vccnz .LBB0_9
; %bb.7:                                ;   in Loop: Header=BB0_2 Depth=1
	v_mov_b32_e32 v5, v7
	v_mov_b32_e32 v6, v8
	s_branch .LBB0_2
.LBB0_8:
	v_mov_b32_e32 v8, v6
	v_mov_b32_e32 v7, v5
.LBB0_9:
	s_lshl_b64 s[0:1], s[10:11], 3
	v_mul_hi_u32 v3, 0x199999a, v0
	s_add_u32 s0, s12, s0
	s_addc_u32 s1, s13, s1
	s_load_dwordx2 s[0:1], s[0:1], 0x0
	s_load_dwordx2 s[4:5], s[4:5], 0x20
	v_mul_u32_u24_e32 v3, 0xa0, v3
	v_sub_nc_u32_e32 v64, v0, v3
	v_lshl_add_u32 v68, v64, 4, 0
	s_waitcnt lgkmcnt(0)
	v_mul_lo_u32 v4, s0, v8
	v_mul_lo_u32 v5, s1, v7
	v_mad_u64_u32 v[1:2], null, s0, v7, v[1:2]
	v_cmp_gt_u64_e32 vcc_lo, s[4:5], v[7:8]
	v_add3_u32 v2, v5, v2, v4
	v_lshlrev_b64 v[66:67], 4, v[1:2]
	s_and_saveexec_b32 s1, vcc_lo
	s_cbranch_execz .LBB0_11
; %bb.10:
	v_mov_b32_e32 v65, 0
	v_add_co_u32 v2, s0, s2, v66
	v_add_co_ci_u32_e64 v3, s0, s3, v67, s0
	v_lshlrev_b64 v[0:1], 4, v[64:65]
	v_add_co_u32 v0, s0, v2, v0
	v_add_co_ci_u32_e64 v1, s0, v3, v1, s0
	v_add_co_u32 v4, s0, 0x800, v0
	v_add_co_ci_u32_e64 v5, s0, 0, v1, s0
	;; [unrolled: 2-line block ×6, first 2 shown]
	s_clause 0x5
	global_load_dwordx4 v[0:3], v[0:1], off
	global_load_dwordx4 v[4:7], v[4:5], off offset:512
	global_load_dwordx4 v[8:11], v[8:9], off offset:1024
	;; [unrolled: 1-line block ×3, first 2 shown]
	global_load_dwordx4 v[16:19], v[16:17], off
	global_load_dwordx4 v[20:23], v[20:21], off offset:512
	s_waitcnt vmcnt(5)
	ds_write_b128 v68, v[0:3]
	s_waitcnt vmcnt(4)
	ds_write_b128 v68, v[4:7] offset:2560
	s_waitcnt vmcnt(3)
	ds_write_b128 v68, v[8:11] offset:5120
	;; [unrolled: 2-line block ×5, first 2 shown]
.LBB0_11:
	s_or_b32 exec_lo, exec_lo, s1
	s_waitcnt lgkmcnt(0)
	s_barrier
	buffer_gl0_inv
	ds_read_b128 v[0:3], v68 offset:7680
	ds_read_b128 v[4:7], v68 offset:3840
	ds_read_b128 v[8:11], v68
	ds_read_b128 v[12:15], v68 offset:11520
	ds_read_b128 v[16:19], v68 offset:9600
	;; [unrolled: 1-line block ×13, first 2 shown]
	s_mov_b32 s0, 0x667f3bcd
	s_mov_b32 s1, 0xbfe6a09e
	;; [unrolled: 1-line block ×6, first 2 shown]
	s_waitcnt lgkmcnt(13)
	v_add_f64 v[0:1], v[8:9], -v[0:1]
	v_add_f64 v[2:3], v[10:11], -v[2:3]
	s_waitcnt lgkmcnt(12)
	v_add_f64 v[12:13], v[4:5], -v[12:13]
	v_add_f64 v[14:15], v[6:7], -v[14:15]
	;; [unrolled: 3-line block ×6, first 2 shown]
	s_waitcnt lgkmcnt(2)
	v_add_f64 v[54:55], v[38:39], -v[54:55]
	s_waitcnt lgkmcnt(0)
	v_add_f64 v[62:63], v[58:59], -v[62:63]
	v_add_f64 v[52:53], v[36:37], -v[52:53]
	;; [unrolled: 1-line block ×3, first 2 shown]
	s_mov_b32 s7, 0xbfed906b
	s_mov_b32 s11, 0xbfd87de2
	;; [unrolled: 1-line block ×6, first 2 shown]
	v_fma_f64 v[8:9], v[8:9], 2.0, -v[0:1]
	v_fma_f64 v[10:11], v[10:11], 2.0, -v[2:3]
	v_fma_f64 v[4:5], v[4:5], 2.0, -v[12:13]
	v_fma_f64 v[6:7], v[6:7], 2.0, -v[14:15]
	v_add_f64 v[14:15], v[0:1], -v[14:15]
	v_add_f64 v[12:13], v[2:3], v[12:13]
	v_fma_f64 v[32:33], v[32:33], 2.0, -v[28:29]
	v_fma_f64 v[34:35], v[34:35], 2.0, -v[30:31]
	v_add_f64 v[30:31], v[16:17], -v[30:31]
	v_add_f64 v[28:29], v[18:19], v[28:29]
	v_fma_f64 v[44:45], v[44:45], 2.0, -v[48:49]
	v_fma_f64 v[46:47], v[46:47], 2.0, -v[50:51]
	v_add_f64 v[50:51], v[40:41], -v[50:51]
	v_fma_f64 v[58:59], v[58:59], 2.0, -v[62:63]
	v_add_f64 v[62:63], v[52:53], -v[62:63]
	v_add_f64 v[48:49], v[42:43], v[48:49]
	v_add_f64 v[69:70], v[54:55], v[60:61]
	v_fma_f64 v[24:25], v[24:25], 2.0, -v[16:17]
	v_fma_f64 v[26:27], v[26:27], 2.0, -v[18:19]
	v_fma_f64 v[20:21], v[20:21], 2.0, -v[40:41]
	v_fma_f64 v[22:23], v[22:23], 2.0, -v[42:43]
	v_fma_f64 v[38:39], v[38:39], 2.0, -v[54:55]
	v_fma_f64 v[36:37], v[36:37], 2.0, -v[52:53]
	v_fma_f64 v[56:57], v[56:57], 2.0, -v[60:61]
	v_add_f64 v[4:5], v[8:9], -v[4:5]
	v_add_f64 v[6:7], v[10:11], -v[6:7]
	v_fma_f64 v[0:1], v[0:1], 2.0, -v[14:15]
	v_fma_f64 v[2:3], v[2:3], 2.0, -v[12:13]
	s_barrier
	v_fma_f64 v[16:17], v[16:17], 2.0, -v[30:31]
	v_fma_f64 v[18:19], v[18:19], 2.0, -v[28:29]
	v_fma_f64 v[60:61], v[30:31], s[4:5], v[14:15]
	v_fma_f64 v[75:76], v[28:29], s[4:5], v[12:13]
	v_fma_f64 v[40:41], v[40:41], 2.0, -v[50:51]
	buffer_gl0_inv
	v_fma_f64 v[52:53], v[52:53], 2.0, -v[62:63]
	v_fma_f64 v[42:43], v[42:43], 2.0, -v[48:49]
	v_fma_f64 v[54:55], v[54:55], 2.0, -v[69:70]
	v_add_f64 v[32:33], v[24:25], -v[32:33]
	v_add_f64 v[34:35], v[26:27], -v[34:35]
	;; [unrolled: 1-line block ×5, first 2 shown]
	v_fma_f64 v[71:72], v[62:63], s[4:5], v[50:51]
	v_add_f64 v[56:57], v[36:37], -v[56:57]
	v_fma_f64 v[73:74], v[69:70], s[4:5], v[48:49]
	v_fma_f64 v[8:9], v[8:9], 2.0, -v[4:5]
	v_fma_f64 v[10:11], v[10:11], 2.0, -v[6:7]
	v_fma_f64 v[81:82], v[16:17], s[0:1], v[0:1]
	v_fma_f64 v[83:84], v[18:19], s[0:1], v[2:3]
	;; [unrolled: 1-line block ×6, first 2 shown]
	v_add_f64 v[87:88], v[6:7], v[32:33]
	v_add_f64 v[85:86], v[4:5], -v[34:35]
	v_fma_f64 v[20:21], v[20:21], 2.0, -v[44:45]
	v_fma_f64 v[22:23], v[22:23], 2.0, -v[46:47]
	v_add_f64 v[89:90], v[44:45], -v[58:59]
	v_fma_f64 v[69:70], v[69:70], s[0:1], v[71:72]
	v_add_f64 v[91:92], v[46:47], v[56:57]
	v_fma_f64 v[60:61], v[62:63], s[4:5], v[73:74]
	v_fma_f64 v[36:37], v[36:37], 2.0, -v[56:57]
	v_fma_f64 v[38:39], v[38:39], 2.0, -v[58:59]
	;; [unrolled: 1-line block ×4, first 2 shown]
	v_fma_f64 v[71:72], v[18:19], s[0:1], v[81:82]
	v_fma_f64 v[73:74], v[16:17], s[4:5], v[83:84]
	v_fma_f64 v[75:76], v[14:15], 2.0, -v[28:29]
	v_fma_f64 v[32:33], v[54:55], s[0:1], v[77:78]
	v_fma_f64 v[77:78], v[12:13], 2.0, -v[30:31]
	;; [unrolled: 2-line block ×3, first 2 shown]
	v_fma_f64 v[4:5], v[4:5], 2.0, -v[85:86]
	v_fma_f64 v[16:17], v[44:45], 2.0, -v[89:90]
	;; [unrolled: 1-line block ×5, first 2 shown]
	v_add_f64 v[14:15], v[20:21], -v[36:37]
	v_add_f64 v[36:37], v[22:23], -v[38:39]
	;; [unrolled: 1-line block ×4, first 2 shown]
	v_fma_f64 v[99:100], v[60:61], s[14:15], v[30:31]
	v_fma_f64 v[79:80], v[0:1], 2.0, -v[71:72]
	v_fma_f64 v[81:82], v[2:3], 2.0, -v[73:74]
	v_fma_f64 v[0:1], v[89:90], s[4:5], v[85:86]
	v_fma_f64 v[2:3], v[91:92], s[4:5], v[87:88]
	v_fma_f64 v[12:13], v[40:41], 2.0, -v[32:33]
	v_fma_f64 v[40:41], v[69:70], s[14:15], v[28:29]
	v_fma_f64 v[38:39], v[42:43], 2.0, -v[34:35]
	v_fma_f64 v[93:94], v[34:35], s[12:13], v[73:74]
	v_fma_f64 v[95:96], v[32:33], s[12:13], v[71:72]
	;; [unrolled: 1-line block ×6, first 2 shown]
	v_fma_f64 v[20:21], v[20:21], 2.0, -v[14:15]
	v_fma_f64 v[22:23], v[22:23], 2.0, -v[36:37]
	;; [unrolled: 1-line block ×4, first 2 shown]
	v_add_f64 v[50:51], v[26:27], v[14:15]
	v_add_f64 v[48:49], v[24:25], -v[36:37]
	v_fma_f64 v[44:45], v[91:92], s[0:1], v[0:1]
	v_fma_f64 v[46:47], v[89:90], s[4:5], v[2:3]
	;; [unrolled: 1-line block ×11, first 2 shown]
	v_add_f64 v[20:21], v[8:9], -v[20:21]
	v_add_f64 v[22:23], v[10:11], -v[22:23]
	v_fma_f64 v[54:55], v[32:33], s[14:15], v[93:94]
	s_mov_b32 s1, exec_lo
	v_fma_f64 v[16:17], v[85:86], 2.0, -v[44:45]
	v_fma_f64 v[18:19], v[87:88], 2.0, -v[46:47]
	v_fma_f64 v[36:37], v[38:39], s[10:11], v[14:15]
	v_fma_f64 v[14:15], v[26:27], 2.0, -v[50:51]
	v_fma_f64 v[38:39], v[12:13], s[12:13], v[97:98]
	v_fma_f64 v[12:13], v[24:25], 2.0, -v[48:49]
	v_fma_f64 v[28:29], v[28:29], 2.0, -v[40:41]
	;; [unrolled: 1-line block ×13, first 2 shown]
	v_cmpx_gt_u32_e32 60, v64
	s_cbranch_execz .LBB0_13
; %bb.12:
	v_mad_u32_u24 v65, 0xf0, v64, v68
	ds_write_b128 v65, v[0:3]
	ds_write_b128 v65, v[4:7] offset:16
	ds_write_b128 v65, v[8:11] offset:32
	ds_write_b128 v65, v[24:27] offset:48
	ds_write_b128 v65, v[12:15] offset:64
	ds_write_b128 v65, v[32:35] offset:80
	ds_write_b128 v65, v[16:19] offset:96
	ds_write_b128 v65, v[28:31] offset:112
	ds_write_b128 v65, v[20:23] offset:128
	ds_write_b128 v65, v[36:39] offset:144
	ds_write_b128 v65, v[60:63] offset:160
	ds_write_b128 v65, v[56:59] offset:176
	ds_write_b128 v65, v[48:51] offset:192
	ds_write_b128 v65, v[52:55] offset:208
	ds_write_b128 v65, v[44:47] offset:224
	ds_write_b128 v65, v[40:43] offset:240
.LBB0_13:
	s_or_b32 exec_lo, exec_lo, s1
	v_cmp_gt_u32_e64 s0, 0x60, v64
	s_waitcnt lgkmcnt(0)
	s_barrier
	buffer_gl0_inv
	s_and_saveexec_b32 s1, s0
	s_cbranch_execz .LBB0_15
; %bb.14:
	ds_read_b128 v[0:3], v68
	ds_read_b128 v[4:7], v68 offset:1536
	ds_read_b128 v[8:11], v68 offset:3072
	;; [unrolled: 1-line block ×9, first 2 shown]
.LBB0_15:
	s_or_b32 exec_lo, exec_lo, s1
	s_waitcnt lgkmcnt(0)
	s_barrier
	buffer_gl0_inv
	s_and_saveexec_b32 s14, s0
	s_cbranch_execz .LBB0_17
; %bb.16:
	v_and_b32_e32 v40, 15, v64
	s_mov_b32 s0, 0x134454ff
	s_mov_b32 s1, 0x3fee6f0e
	s_mov_b32 s5, 0xbfee6f0e
	s_mov_b32 s4, s0
	v_mul_u32_u24_e32 v41, 9, v40
	s_mov_b32 s6, 0x4755a5e
	s_mov_b32 s7, 0x3fe2cf23
	;; [unrolled: 1-line block ×4, first 2 shown]
	v_lshlrev_b32_e32 v61, 4, v41
	s_mov_b32 s12, 0x372fe950
	s_mov_b32 s13, 0x3fd3c6ef
	;; [unrolled: 1-line block ×4, first 2 shown]
	s_clause 0x8
	global_load_dwordx4 v[41:44], v61, s[8:9] offset:32
	global_load_dwordx4 v[45:48], v61, s[8:9] offset:64
	;; [unrolled: 1-line block ×8, first 2 shown]
	global_load_dwordx4 v[81:84], v61, s[8:9]
	s_waitcnt vmcnt(8)
	v_mul_f64 v[61:62], v[26:27], v[43:44]
	v_mul_f64 v[43:44], v[24:25], v[43:44]
	s_waitcnt vmcnt(7)
	v_mul_f64 v[85:86], v[34:35], v[47:48]
	v_mul_f64 v[47:48], v[32:33], v[47:48]
	;; [unrolled: 3-line block ×3, first 2 shown]
	v_fma_f64 v[24:25], v[24:25], v[41:42], -v[61:62]
	v_fma_f64 v[26:27], v[26:27], v[41:42], v[43:44]
	s_waitcnt vmcnt(5)
	v_mul_f64 v[41:42], v[28:29], v[55:56]
	v_mul_f64 v[43:44], v[30:31], v[55:56]
	s_waitcnt vmcnt(4)
	v_mul_f64 v[55:56], v[8:9], v[59:60]
	s_waitcnt vmcnt(3)
	v_mul_f64 v[61:62], v[12:13], v[71:72]
	v_fma_f64 v[32:33], v[32:33], v[45:46], -v[85:86]
	v_fma_f64 v[34:35], v[34:35], v[45:46], v[47:48]
	s_waitcnt vmcnt(2)
	v_mul_f64 v[45:46], v[16:17], v[75:76]
	s_waitcnt vmcnt(1)
	v_mul_f64 v[47:48], v[20:21], v[79:80]
	;; [unrolled: 2-line block ×3, first 2 shown]
	v_mul_f64 v[71:72], v[14:15], v[71:72]
	v_fma_f64 v[38:39], v[38:39], v[49:50], v[87:88]
	v_fma_f64 v[36:37], v[36:37], v[49:50], -v[51:52]
	v_mul_f64 v[49:50], v[18:19], v[75:76]
	v_mul_f64 v[51:52], v[10:11], v[59:60]
	;; [unrolled: 1-line block ×3, first 2 shown]
	v_fma_f64 v[30:31], v[30:31], v[53:54], v[41:42]
	v_mul_f64 v[41:42], v[6:7], v[83:84]
	v_fma_f64 v[28:29], v[28:29], v[53:54], -v[43:44]
	v_fma_f64 v[10:11], v[10:11], v[57:58], v[55:56]
	v_fma_f64 v[14:15], v[14:15], v[69:70], v[61:62]
	;; [unrolled: 1-line block ×5, first 2 shown]
	v_fma_f64 v[12:13], v[12:13], v[69:70], -v[71:72]
	v_add_f64 v[85:86], v[34:35], -v[26:27]
	v_add_f64 v[45:46], v[24:25], v[36:37]
	v_fma_f64 v[16:17], v[16:17], v[73:74], -v[49:50]
	v_fma_f64 v[8:9], v[8:9], v[57:58], -v[51:52]
	;; [unrolled: 1-line block ×3, first 2 shown]
	v_add_f64 v[49:50], v[26:27], -v[38:39]
	v_add_f64 v[53:54], v[24:25], -v[36:37]
	;; [unrolled: 1-line block ×4, first 2 shown]
	v_add_f64 v[43:44], v[34:35], v[30:31]
	v_fma_f64 v[4:5], v[4:5], v[81:82], -v[41:42]
	v_add_f64 v[41:42], v[26:27], v[38:39]
	v_add_f64 v[47:48], v[32:33], v[28:29]
	v_add_f64 v[51:52], v[34:35], -v[30:31]
	v_add_f64 v[69:70], v[32:33], -v[28:29]
	v_add_f64 v[55:56], v[14:15], v[18:19]
	v_add_f64 v[57:58], v[10:11], v[22:23]
	v_add_f64 v[75:76], v[36:37], -v[28:29]
	v_add_f64 v[79:80], v[38:39], -v[30:31]
	;; [unrolled: 1-line block ×4, first 2 shown]
	v_add_f64 v[59:60], v[12:13], v[16:17]
	v_add_f64 v[87:88], v[30:31], -v[38:39]
	v_add_f64 v[61:62], v[8:9], v[20:21]
	v_add_f64 v[71:72], v[10:11], -v[14:15]
	v_add_f64 v[93:94], v[22:23], -v[18:19]
	v_fma_f64 v[43:44], v[43:44], -0.5, v[6:7]
	v_fma_f64 v[45:46], v[45:46], -0.5, v[4:5]
	;; [unrolled: 1-line block ×4, first 2 shown]
	v_add_f64 v[6:7], v[6:7], v[26:27]
	v_add_f64 v[4:5], v[4:5], v[24:25]
	;; [unrolled: 1-line block ×3, first 2 shown]
	v_fma_f64 v[26:27], v[55:56], -0.5, v[2:3]
	v_fma_f64 v[2:3], v[57:58], -0.5, v[2:3]
	v_add_f64 v[73:74], v[73:74], v[75:76]
	v_add_f64 v[75:76], v[14:15], -v[10:11]
	v_add_f64 v[77:78], v[77:78], v[79:80]
	v_fma_f64 v[55:56], v[59:60], -0.5, v[0:1]
	v_add_f64 v[79:80], v[18:19], -v[22:23]
	v_fma_f64 v[57:58], v[61:62], -0.5, v[0:1]
	v_add_f64 v[0:1], v[0:1], v[8:9]
	v_add_f64 v[81:82], v[81:82], v[83:84]
	v_add_f64 v[83:84], v[8:9], -v[20:21]
	v_add_f64 v[85:86], v[85:86], v[87:88]
	v_add_f64 v[87:88], v[12:13], -v[16:17]
	v_add_f64 v[10:11], v[10:11], -v[22:23]
	v_add_f64 v[71:72], v[71:72], v[93:94]
	v_fma_f64 v[59:60], v[53:54], s[0:1], v[43:44]
	v_fma_f64 v[43:44], v[53:54], s[4:5], v[43:44]
	;; [unrolled: 1-line block ×8, first 2 shown]
	v_add_f64 v[6:7], v[6:7], v[34:35]
	v_add_f64 v[4:5], v[4:5], v[32:33]
	;; [unrolled: 1-line block ×4, first 2 shown]
	v_fma_f64 v[59:60], v[69:70], s[6:7], v[59:60]
	v_fma_f64 v[43:44], v[69:70], s[10:11], v[43:44]
	;; [unrolled: 1-line block ×5, first 2 shown]
	v_add_f64 v[91:92], v[14:15], -v[18:19]
	v_fma_f64 v[41:42], v[53:54], s[10:11], v[41:42]
	v_fma_f64 v[45:46], v[49:50], s[10:11], v[45:46]
	;; [unrolled: 1-line block ×3, first 2 shown]
	v_add_f64 v[14:15], v[24:25], v[14:15]
	v_add_f64 v[53:54], v[8:9], -v[12:13]
	v_add_f64 v[49:50], v[20:21], -v[16:17]
	;; [unrolled: 1-line block ×4, first 2 shown]
	v_fma_f64 v[12:13], v[83:84], s[0:1], v[26:27]
	v_fma_f64 v[24:25], v[87:88], s[4:5], v[2:3]
	;; [unrolled: 1-line block ×4, first 2 shown]
	v_add_f64 v[6:7], v[6:7], v[30:31]
	v_add_f64 v[0:1], v[0:1], v[16:17]
	;; [unrolled: 1-line block ×3, first 2 shown]
	v_fma_f64 v[32:33], v[77:78], s[12:13], v[59:60]
	v_fma_f64 v[43:44], v[77:78], s[12:13], v[43:44]
	;; [unrolled: 1-line block ×12, first 2 shown]
	v_add_f64 v[14:15], v[14:15], v[18:19]
	v_add_f64 v[49:50], v[53:54], v[49:50]
	;; [unrolled: 1-line block ×3, first 2 shown]
	v_fma_f64 v[16:17], v[83:84], s[6:7], v[24:25]
	v_fma_f64 v[2:3], v[83:84], s[10:11], v[2:3]
	;; [unrolled: 1-line block ×4, first 2 shown]
	v_add_f64 v[6:7], v[6:7], v[38:39]
	v_add_f64 v[20:21], v[0:1], v[20:21]
	;; [unrolled: 1-line block ×3, first 2 shown]
	v_mul_f64 v[24:25], v[32:33], s[16:17]
	v_lshrrev_b32_e32 v0, 4, v64
	v_mul_f64 v[26:27], v[34:35], s[12:13]
	v_mul_f64 v[28:29], v[59:60], s[4:5]
	;; [unrolled: 1-line block ×3, first 2 shown]
	v_fma_f64 v[51:52], v[91:92], s[10:11], v[69:70]
	v_fma_f64 v[53:54], v[10:11], s[10:11], v[79:80]
	;; [unrolled: 1-line block ×4, first 2 shown]
	v_mul_f64 v[57:58], v[43:44], s[6:7]
	v_mul_f64 v[69:70], v[41:42], s[0:1]
	;; [unrolled: 1-line block ×4, first 2 shown]
	v_add_f64 v[14:15], v[14:15], v[22:23]
	v_fma_f64 v[16:17], v[75:76], s[12:13], v[16:17]
	v_fma_f64 v[36:37], v[75:76], s[12:13], v[2:3]
	;; [unrolled: 1-line block ×4, first 2 shown]
	v_fma_f64 v[24:25], v[47:48], s[10:11], -v[24:25]
	v_fma_f64 v[45:46], v[45:46], s[4:5], -v[26:27]
	v_fma_f64 v[28:29], v[41:42], s[12:13], v[28:29]
	v_fma_f64 v[41:42], v[43:44], s[16:17], v[30:31]
	;; [unrolled: 1-line block ×8, first 2 shown]
	v_fma_f64 v[55:56], v[34:35], s[0:1], -v[73:74]
	v_fma_f64 v[57:58], v[32:33], s[6:7], -v[77:78]
	v_mul_u32_u24_e32 v59, 0xa0, v0
	v_add_f64 v[2:3], v[14:15], -v[6:7]
	v_add_f64 v[0:1], v[20:21], -v[4:5]
	v_add_f64 v[6:7], v[14:15], v[6:7]
	v_add_f64 v[4:5], v[20:21], v[4:5]
	v_or_b32_e32 v40, v59, v40
	v_add_f64 v[10:11], v[12:13], -v[24:25]
	v_add_f64 v[26:27], v[12:13], v[24:25]
	v_add_f64 v[30:31], v[16:17], v[45:46]
	v_add_f64 v[18:19], v[36:37], -v[28:29]
	v_add_f64 v[22:23], v[38:39], -v[41:42]
	v_add_f64 v[34:35], v[36:37], v[28:29]
	v_add_f64 v[38:39], v[38:39], v[41:42]
	v_add_f64 v[14:15], v[16:17], -v[45:46]
	v_lshl_add_u32 v40, v40, 4, 0
	v_add_f64 v[36:37], v[49:50], v[51:52]
	v_add_f64 v[32:33], v[8:9], v[53:54]
	;; [unrolled: 1-line block ×4, first 2 shown]
	v_add_f64 v[20:21], v[49:50], -v[51:52]
	v_add_f64 v[16:17], v[8:9], -v[53:54]
	;; [unrolled: 1-line block ×4, first 2 shown]
	ds_write_b128 v40, v[4:7]
	ds_write_b128 v40, v[0:3] offset:1280
	ds_write_b128 v40, v[36:39] offset:256
	;; [unrolled: 1-line block ×9, first 2 shown]
.LBB0_17:
	s_or_b32 exec_lo, exec_lo, s14
	v_mul_u32_u24_e32 v0, 5, v64
	s_waitcnt lgkmcnt(0)
	s_barrier
	buffer_gl0_inv
	s_mov_b32 s5, 0xbfebb67a
	v_lshlrev_b32_e32 v0, 4, v0
	v_mov_b32_e32 v65, 0
	v_add_co_u32 v0, s0, s8, v0
	v_add_co_ci_u32_e64 v1, null, s9, 0, s0
	v_add_co_u32 v16, s0, 0x900, v0
	v_add_co_ci_u32_e64 v17, s0, 0, v1, s0
	v_add_co_u32 v8, s0, 0x800, v0
	v_add_co_ci_u32_e64 v9, s0, 0, v1, s0
	s_mov_b32 s0, 0xe8584caa
	s_clause 0x4
	global_load_dwordx4 v[0:3], v[16:17], off offset:32
	global_load_dwordx4 v[4:7], v[8:9], off offset:320
	;; [unrolled: 1-line block ×5, first 2 shown]
	ds_read_b128 v[20:23], v68 offset:7680
	ds_read_b128 v[24:27], v68 offset:12800
	;; [unrolled: 1-line block ×5, first 2 shown]
	s_mov_b32 s1, 0x3febb67a
	s_mov_b32 s4, s0
	s_waitcnt vmcnt(4) lgkmcnt(4)
	v_mul_f64 v[40:41], v[22:23], v[2:3]
	v_mul_f64 v[2:3], v[20:21], v[2:3]
	s_waitcnt vmcnt(3) lgkmcnt(3)
	v_mul_f64 v[42:43], v[24:25], v[6:7]
	v_mul_f64 v[6:7], v[26:27], v[6:7]
	;; [unrolled: 3-line block ×3, first 2 shown]
	v_fma_f64 v[20:21], v[20:21], v[0:1], -v[40:41]
	v_fma_f64 v[22:23], v[22:23], v[0:1], v[2:3]
	v_fma_f64 v[26:27], v[26:27], v[4:5], v[42:43]
	v_fma_f64 v[4:5], v[24:25], v[4:5], -v[6:7]
	s_waitcnt vmcnt(1) lgkmcnt(1)
	v_mul_f64 v[0:1], v[34:35], v[14:15]
	v_mul_f64 v[2:3], v[32:33], v[14:15]
	s_waitcnt vmcnt(0) lgkmcnt(0)
	v_mul_f64 v[6:7], v[38:39], v[18:19]
	v_mul_f64 v[14:15], v[36:37], v[18:19]
	v_fma_f64 v[18:19], v[28:29], v[8:9], -v[44:45]
	v_fma_f64 v[8:9], v[30:31], v[8:9], v[10:11]
	v_add_f64 v[10:11], v[22:23], v[26:27]
	v_add_f64 v[24:25], v[20:21], v[4:5]
	v_fma_f64 v[28:29], v[32:33], v[12:13], -v[0:1]
	v_fma_f64 v[12:13], v[34:35], v[12:13], v[2:3]
	v_fma_f64 v[6:7], v[36:37], v[16:17], -v[6:7]
	v_fma_f64 v[14:15], v[38:39], v[16:17], v[14:15]
	v_add_f64 v[16:17], v[22:23], -v[26:27]
	v_add_f64 v[30:31], v[20:21], -v[4:5]
	ds_read_b128 v[0:3], v68
	s_waitcnt lgkmcnt(0)
	s_barrier
	buffer_gl0_inv
	v_fma_f64 v[10:11], v[10:11], -0.5, v[8:9]
	v_fma_f64 v[24:25], v[24:25], -0.5, v[18:19]
	v_add_f64 v[18:19], v[18:19], v[20:21]
	v_add_f64 v[8:9], v[8:9], v[22:23]
	v_add_f64 v[32:33], v[28:29], v[6:7]
	v_add_f64 v[34:35], v[12:13], v[14:15]
	v_add_f64 v[20:21], v[28:29], -v[6:7]
	v_fma_f64 v[36:37], v[30:31], s[4:5], v[10:11]
	v_fma_f64 v[38:39], v[16:17], s[4:5], v[24:25]
	v_fma_f64 v[16:17], v[16:17], s[0:1], v[24:25]
	v_fma_f64 v[10:11], v[30:31], s[0:1], v[10:11]
	v_add_f64 v[24:25], v[0:1], v[28:29]
	v_add_f64 v[30:31], v[12:13], -v[14:15]
	v_add_f64 v[12:13], v[2:3], v[12:13]
	v_fma_f64 v[0:1], v[32:33], -0.5, v[0:1]
	v_fma_f64 v[2:3], v[34:35], -0.5, v[2:3]
	v_add_f64 v[4:5], v[18:19], v[4:5]
	v_add_f64 v[8:9], v[8:9], v[26:27]
	v_mul_f64 v[22:23], v[36:37], s[0:1]
	v_mul_f64 v[28:29], v[38:39], -0.5
	v_mul_f64 v[32:33], v[16:17], s[4:5]
	v_mul_f64 v[34:35], v[10:11], -0.5
	v_add_f64 v[6:7], v[24:25], v[6:7]
	v_add_f64 v[12:13], v[12:13], v[14:15]
	v_fma_f64 v[18:19], v[30:31], s[0:1], v[0:1]
	v_fma_f64 v[26:27], v[20:21], s[4:5], v[2:3]
	;; [unrolled: 1-line block ×4, first 2 shown]
	v_fma_f64 v[16:17], v[16:17], 0.5, v[22:23]
	v_fma_f64 v[20:21], v[10:11], s[0:1], v[28:29]
	v_fma_f64 v[22:23], v[36:37], 0.5, v[32:33]
	v_fma_f64 v[28:29], v[38:39], s[4:5], v[34:35]
	v_add_f64 v[0:1], v[6:7], v[4:5]
	v_add_f64 v[4:5], v[6:7], -v[4:5]
	v_add_f64 v[2:3], v[12:13], v[8:9]
	v_add_f64 v[6:7], v[12:13], -v[8:9]
	s_add_u32 s1, s8, 0x3b00
	s_addc_u32 s4, s9, 0
	s_mov_b32 s5, exec_lo
	v_add_f64 v[8:9], v[18:19], v[16:17]
	v_add_f64 v[12:13], v[24:25], v[20:21]
	;; [unrolled: 1-line block ×4, first 2 shown]
	v_add_f64 v[16:17], v[18:19], -v[16:17]
	v_add_f64 v[18:19], v[26:27], -v[22:23]
	v_add_f64 v[20:21], v[24:25], -v[20:21]
	v_add_f64 v[22:23], v[30:31], -v[28:29]
	ds_write_b128 v68, v[0:3]
	ds_write_b128 v68, v[4:7] offset:7680
	ds_write_b128 v68, v[8:11] offset:2560
	;; [unrolled: 1-line block ×5, first 2 shown]
	s_waitcnt lgkmcnt(0)
	s_barrier
	buffer_gl0_inv
	ds_read_b128 v[4:7], v68
	v_lshlrev_b32_e32 v0, 4, v64
                                        ; implicit-def: $vgpr8_vgpr9
                                        ; implicit-def: $vgpr10_vgpr11
	v_sub_nc_u32_e32 v12, 0, v0
                                        ; implicit-def: $vgpr0_vgpr1
	v_cmpx_ne_u32_e32 0, v64
	s_xor_b32 s5, exec_lo, s5
	s_cbranch_execz .LBB0_19
; %bb.18:
	v_lshlrev_b64 v[0:1], 4, v[64:65]
	v_add_co_u32 v0, s0, s1, v0
	v_add_co_ci_u32_e64 v1, s0, s4, v1, s0
	global_load_dwordx4 v[13:16], v[0:1], off
	ds_read_b128 v[0:3], v12 offset:15360
	s_waitcnt lgkmcnt(0)
	v_add_f64 v[8:9], v[4:5], -v[0:1]
	v_add_f64 v[10:11], v[6:7], v[2:3]
	v_add_f64 v[2:3], v[6:7], -v[2:3]
	v_add_f64 v[0:1], v[4:5], v[0:1]
	v_mul_f64 v[6:7], v[8:9], 0.5
	v_mul_f64 v[4:5], v[10:11], 0.5
	v_mul_f64 v[2:3], v[2:3], 0.5
	s_waitcnt vmcnt(0)
	v_mul_f64 v[8:9], v[6:7], v[15:16]
	v_fma_f64 v[10:11], v[4:5], v[15:16], v[2:3]
	v_fma_f64 v[2:3], v[4:5], v[15:16], -v[2:3]
	v_fma_f64 v[17:18], v[0:1], 0.5, v[8:9]
	v_fma_f64 v[0:1], v[0:1], 0.5, -v[8:9]
	v_fma_f64 v[10:11], -v[13:14], v[6:7], v[10:11]
	v_fma_f64 v[2:3], -v[13:14], v[6:7], v[2:3]
	v_fma_f64 v[8:9], v[4:5], v[13:14], v[17:18]
	v_fma_f64 v[0:1], -v[4:5], v[13:14], v[0:1]
                                        ; implicit-def: $vgpr4_vgpr5
.LBB0_19:
	s_andn2_saveexec_b32 s0, s5
	s_cbranch_execz .LBB0_21
; %bb.20:
	v_mov_b32_e32 v15, 0
	s_waitcnt lgkmcnt(0)
	v_add_f64 v[8:9], v[4:5], v[6:7]
	v_add_f64 v[0:1], v[4:5], -v[6:7]
	v_mov_b32_e32 v10, 0
	v_mov_b32_e32 v11, 0
	ds_read_b64 v[13:14], v15 offset:7688
	v_mov_b32_e32 v2, v10
	v_mov_b32_e32 v3, v11
	s_waitcnt lgkmcnt(0)
	v_xor_b32_e32 v14, 0x80000000, v14
	ds_write_b64 v15, v[13:14] offset:7688
.LBB0_21:
	s_or_b32 exec_lo, exec_lo, s0
	s_waitcnt lgkmcnt(0)
	v_add_nc_u32_e32 v4, 0xa0, v64
	v_mov_b32_e32 v5, 0
	v_lshlrev_b64 v[6:7], 4, v[4:5]
	v_add_nc_u32_e32 v4, 0x140, v64
	v_add_co_u32 v6, s0, s1, v6
	v_add_co_ci_u32_e64 v7, s0, s4, v7, s0
	global_load_dwordx4 v[13:16], v[6:7], off
	v_lshlrev_b64 v[6:7], 4, v[4:5]
	v_add_nc_u32_e32 v4, 0x800, v68
	v_add_co_u32 v6, s0, s1, v6
	v_add_co_ci_u32_e64 v7, s0, s4, v7, s0
	global_load_dwordx4 v[17:20], v[6:7], off
	ds_write2_b64 v68, v[8:9], v[10:11] offset1:1
	ds_write_b128 v12, v[0:3] offset:15360
	ds_read_b128 v[0:3], v68 offset:2560
	ds_read_b128 v[6:9], v12 offset:12800
	s_waitcnt lgkmcnt(0)
	v_add_f64 v[10:11], v[0:1], -v[6:7]
	v_add_f64 v[21:22], v[2:3], v[8:9]
	v_add_f64 v[2:3], v[2:3], -v[8:9]
	v_add_f64 v[0:1], v[0:1], v[6:7]
	v_mul_f64 v[8:9], v[10:11], 0.5
	v_mul_f64 v[10:11], v[21:22], 0.5
	;; [unrolled: 1-line block ×3, first 2 shown]
	s_waitcnt vmcnt(1)
	v_mul_f64 v[6:7], v[8:9], v[15:16]
	v_fma_f64 v[21:22], v[10:11], v[15:16], v[2:3]
	v_fma_f64 v[2:3], v[10:11], v[15:16], -v[2:3]
	v_fma_f64 v[15:16], v[0:1], 0.5, v[6:7]
	v_fma_f64 v[0:1], v[0:1], 0.5, -v[6:7]
	v_fma_f64 v[6:7], -v[13:14], v[8:9], v[21:22]
	v_fma_f64 v[2:3], -v[13:14], v[8:9], v[2:3]
	v_fma_f64 v[8:9], v[10:11], v[13:14], v[15:16]
	v_fma_f64 v[0:1], -v[10:11], v[13:14], v[0:1]
	ds_write2_b64 v4, v[8:9], v[6:7] offset0:64 offset1:65
	ds_write_b128 v12, v[0:3] offset:12800
	ds_read_b128 v[0:3], v68 offset:5120
	ds_read_b128 v[6:9], v12 offset:10240
	v_add_nc_u32_e32 v4, 0x1000, v68
	s_waitcnt lgkmcnt(0)
	v_add_f64 v[10:11], v[0:1], -v[6:7]
	v_add_f64 v[13:14], v[2:3], v[8:9]
	v_add_f64 v[2:3], v[2:3], -v[8:9]
	v_add_f64 v[0:1], v[0:1], v[6:7]
	v_mul_f64 v[8:9], v[10:11], 0.5
	v_mul_f64 v[10:11], v[13:14], 0.5
	;; [unrolled: 1-line block ×3, first 2 shown]
	s_waitcnt vmcnt(0)
	v_mul_f64 v[6:7], v[8:9], v[19:20]
	v_fma_f64 v[13:14], v[10:11], v[19:20], v[2:3]
	v_fma_f64 v[2:3], v[10:11], v[19:20], -v[2:3]
	v_fma_f64 v[15:16], v[0:1], 0.5, v[6:7]
	v_fma_f64 v[0:1], v[0:1], 0.5, -v[6:7]
	v_fma_f64 v[6:7], -v[17:18], v[8:9], v[13:14]
	v_fma_f64 v[2:3], -v[17:18], v[8:9], v[2:3]
	v_fma_f64 v[8:9], v[10:11], v[17:18], v[15:16]
	v_fma_f64 v[0:1], -v[10:11], v[17:18], v[0:1]
	ds_write2_b64 v4, v[8:9], v[6:7] offset0:128 offset1:129
	ds_write_b128 v12, v[0:3] offset:10240
	s_waitcnt lgkmcnt(0)
	s_barrier
	buffer_gl0_inv
	s_and_saveexec_b32 s0, vcc_lo
	s_cbranch_execz .LBB0_24
; %bb.22:
	v_mov_b32_e32 v65, v5
	ds_read_b128 v[2:5], v68
	ds_read_b128 v[6:9], v68 offset:2560
	v_add_co_u32 v0, vcc_lo, s2, v66
	v_add_co_ci_u32_e32 v1, vcc_lo, s3, v67, vcc_lo
	v_lshlrev_b64 v[10:11], 4, v[64:65]
	v_add_co_u32 v26, vcc_lo, v0, v10
	v_add_co_ci_u32_e32 v27, vcc_lo, v1, v11, vcc_lo
	ds_read_b128 v[10:13], v68 offset:5120
	ds_read_b128 v[14:17], v68 offset:7680
	;; [unrolled: 1-line block ×4, first 2 shown]
	v_add_co_u32 v28, vcc_lo, 0x800, v26
	v_add_co_ci_u32_e32 v29, vcc_lo, 0, v27, vcc_lo
	s_waitcnt lgkmcnt(5)
	global_store_dwordx4 v[26:27], v[2:5], off
	s_waitcnt lgkmcnt(4)
	global_store_dwordx4 v[28:29], v[6:9], off offset:512
	v_add_co_u32 v2, vcc_lo, 0x1000, v26
	v_add_co_ci_u32_e32 v3, vcc_lo, 0, v27, vcc_lo
	v_add_co_u32 v4, vcc_lo, 0x1800, v26
	v_add_co_ci_u32_e32 v5, vcc_lo, 0, v27, vcc_lo
	;; [unrolled: 2-line block ×4, first 2 shown]
	v_cmp_eq_u32_e32 vcc_lo, 0x9f, v64
	s_waitcnt lgkmcnt(3)
	global_store_dwordx4 v[2:3], v[10:13], off offset:1024
	s_waitcnt lgkmcnt(2)
	global_store_dwordx4 v[4:5], v[14:17], off offset:1536
	s_waitcnt lgkmcnt(1)
	global_store_dwordx4 v[6:7], v[18:21], off
	s_waitcnt lgkmcnt(0)
	global_store_dwordx4 v[8:9], v[22:25], off offset:512
	s_and_b32 exec_lo, exec_lo, vcc_lo
	s_cbranch_execz .LBB0_24
; %bb.23:
	v_mov_b32_e32 v2, 0
	v_add_co_u32 v0, vcc_lo, 0x3800, v0
	v_add_co_ci_u32_e32 v1, vcc_lo, 0, v1, vcc_lo
	ds_read_b128 v[2:5], v2 offset:15360
	s_waitcnt lgkmcnt(0)
	global_store_dwordx4 v[0:1], v[2:5], off offset:1024
.LBB0_24:
	s_endpgm
	.section	.rodata,"a",@progbits
	.p2align	6, 0x0
	.amdhsa_kernel fft_rtc_fwd_len960_factors_16_10_6_wgs_160_tpt_160_dp_ip_CI_unitstride_sbrr_R2C_dirReg
		.amdhsa_group_segment_fixed_size 0
		.amdhsa_private_segment_fixed_size 0
		.amdhsa_kernarg_size 88
		.amdhsa_user_sgpr_count 6
		.amdhsa_user_sgpr_private_segment_buffer 1
		.amdhsa_user_sgpr_dispatch_ptr 0
		.amdhsa_user_sgpr_queue_ptr 0
		.amdhsa_user_sgpr_kernarg_segment_ptr 1
		.amdhsa_user_sgpr_dispatch_id 0
		.amdhsa_user_sgpr_flat_scratch_init 0
		.amdhsa_user_sgpr_private_segment_size 0
		.amdhsa_wavefront_size32 1
		.amdhsa_uses_dynamic_stack 0
		.amdhsa_system_sgpr_private_segment_wavefront_offset 0
		.amdhsa_system_sgpr_workgroup_id_x 1
		.amdhsa_system_sgpr_workgroup_id_y 0
		.amdhsa_system_sgpr_workgroup_id_z 0
		.amdhsa_system_sgpr_workgroup_info 0
		.amdhsa_system_vgpr_workitem_id 0
		.amdhsa_next_free_vgpr 101
		.amdhsa_next_free_sgpr 21
		.amdhsa_reserve_vcc 1
		.amdhsa_reserve_flat_scratch 0
		.amdhsa_float_round_mode_32 0
		.amdhsa_float_round_mode_16_64 0
		.amdhsa_float_denorm_mode_32 3
		.amdhsa_float_denorm_mode_16_64 3
		.amdhsa_dx10_clamp 1
		.amdhsa_ieee_mode 1
		.amdhsa_fp16_overflow 0
		.amdhsa_workgroup_processor_mode 1
		.amdhsa_memory_ordered 1
		.amdhsa_forward_progress 0
		.amdhsa_shared_vgpr_count 0
		.amdhsa_exception_fp_ieee_invalid_op 0
		.amdhsa_exception_fp_denorm_src 0
		.amdhsa_exception_fp_ieee_div_zero 0
		.amdhsa_exception_fp_ieee_overflow 0
		.amdhsa_exception_fp_ieee_underflow 0
		.amdhsa_exception_fp_ieee_inexact 0
		.amdhsa_exception_int_div_zero 0
	.end_amdhsa_kernel
	.text
.Lfunc_end0:
	.size	fft_rtc_fwd_len960_factors_16_10_6_wgs_160_tpt_160_dp_ip_CI_unitstride_sbrr_R2C_dirReg, .Lfunc_end0-fft_rtc_fwd_len960_factors_16_10_6_wgs_160_tpt_160_dp_ip_CI_unitstride_sbrr_R2C_dirReg
                                        ; -- End function
	.section	.AMDGPU.csdata,"",@progbits
; Kernel info:
; codeLenInByte = 6900
; NumSgprs: 23
; NumVgprs: 101
; ScratchSize: 0
; MemoryBound: 0
; FloatMode: 240
; IeeeMode: 1
; LDSByteSize: 0 bytes/workgroup (compile time only)
; SGPRBlocks: 2
; VGPRBlocks: 12
; NumSGPRsForWavesPerEU: 23
; NumVGPRsForWavesPerEU: 101
; Occupancy: 9
; WaveLimiterHint : 1
; COMPUTE_PGM_RSRC2:SCRATCH_EN: 0
; COMPUTE_PGM_RSRC2:USER_SGPR: 6
; COMPUTE_PGM_RSRC2:TRAP_HANDLER: 0
; COMPUTE_PGM_RSRC2:TGID_X_EN: 1
; COMPUTE_PGM_RSRC2:TGID_Y_EN: 0
; COMPUTE_PGM_RSRC2:TGID_Z_EN: 0
; COMPUTE_PGM_RSRC2:TIDIG_COMP_CNT: 0
	.text
	.p2alignl 6, 3214868480
	.fill 48, 4, 3214868480
	.type	__hip_cuid_8c11cbaa8fa00874,@object ; @__hip_cuid_8c11cbaa8fa00874
	.section	.bss,"aw",@nobits
	.globl	__hip_cuid_8c11cbaa8fa00874
__hip_cuid_8c11cbaa8fa00874:
	.byte	0                               ; 0x0
	.size	__hip_cuid_8c11cbaa8fa00874, 1

	.ident	"AMD clang version 19.0.0git (https://github.com/RadeonOpenCompute/llvm-project roc-6.4.0 25133 c7fe45cf4b819c5991fe208aaa96edf142730f1d)"
	.section	".note.GNU-stack","",@progbits
	.addrsig
	.addrsig_sym __hip_cuid_8c11cbaa8fa00874
	.amdgpu_metadata
---
amdhsa.kernels:
  - .args:
      - .actual_access:  read_only
        .address_space:  global
        .offset:         0
        .size:           8
        .value_kind:     global_buffer
      - .offset:         8
        .size:           8
        .value_kind:     by_value
      - .actual_access:  read_only
        .address_space:  global
        .offset:         16
        .size:           8
        .value_kind:     global_buffer
      - .actual_access:  read_only
        .address_space:  global
        .offset:         24
        .size:           8
        .value_kind:     global_buffer
      - .offset:         32
        .size:           8
        .value_kind:     by_value
      - .actual_access:  read_only
        .address_space:  global
        .offset:         40
        .size:           8
        .value_kind:     global_buffer
      - .actual_access:  read_only
        .address_space:  global
        .offset:         48
        .size:           8
        .value_kind:     global_buffer
      - .offset:         56
        .size:           4
        .value_kind:     by_value
      - .actual_access:  read_only
        .address_space:  global
        .offset:         64
        .size:           8
        .value_kind:     global_buffer
      - .actual_access:  read_only
        .address_space:  global
        .offset:         72
        .size:           8
        .value_kind:     global_buffer
      - .address_space:  global
        .offset:         80
        .size:           8
        .value_kind:     global_buffer
    .group_segment_fixed_size: 0
    .kernarg_segment_align: 8
    .kernarg_segment_size: 88
    .language:       OpenCL C
    .language_version:
      - 2
      - 0
    .max_flat_workgroup_size: 160
    .name:           fft_rtc_fwd_len960_factors_16_10_6_wgs_160_tpt_160_dp_ip_CI_unitstride_sbrr_R2C_dirReg
    .private_segment_fixed_size: 0
    .sgpr_count:     23
    .sgpr_spill_count: 0
    .symbol:         fft_rtc_fwd_len960_factors_16_10_6_wgs_160_tpt_160_dp_ip_CI_unitstride_sbrr_R2C_dirReg.kd
    .uniform_work_group_size: 1
    .uses_dynamic_stack: false
    .vgpr_count:     101
    .vgpr_spill_count: 0
    .wavefront_size: 32
    .workgroup_processor_mode: 1
amdhsa.target:   amdgcn-amd-amdhsa--gfx1030
amdhsa.version:
  - 1
  - 2
...

	.end_amdgpu_metadata
